;; amdgpu-corpus repo=ROCm/hip-tests kind=compiled arch=gfx906 opt=O3
	.amdgcn_target "amdgcn-amd-amdhsa--gfx906"
	.amdhsa_code_object_version 6
	.section	.text._ZL27kernel_cg_thread_block_typePiS_S_P4dim3S1_S1_,"axG",@progbits,_ZL27kernel_cg_thread_block_typePiS_S_P4dim3S1_S1_,comdat
	.globl	_ZL27kernel_cg_thread_block_typePiS_S_P4dim3S1_S1_ ; -- Begin function _ZL27kernel_cg_thread_block_typePiS_S_P4dim3S1_S1_
	.p2align	8
	.type	_ZL27kernel_cg_thread_block_typePiS_S_P4dim3S1_S1_,@function
_ZL27kernel_cg_thread_block_typePiS_S_P4dim3S1_S1_: ; @_ZL27kernel_cg_thread_block_typePiS_S_P4dim3S1_S1_
; %bb.0:
	s_load_dwordx2 s[10:11], s[4:5], 0x3c
	s_load_dwordx4 s[0:3], s[4:5], 0x20
	s_load_dwordx8 s[12:19], s[4:5], 0x0
	s_waitcnt lgkmcnt(0)
	s_and_b32 s21, s10, 0xffff
	s_mul_i32 s5, s6, s21
	v_add_u32_e32 v3, s5, v0
	v_ashrrev_i32_e32 v4, 31, v3
	s_lshr_b32 s20, s10, 16
	v_lshlrev_b64 v[4:5], 2, v[3:4]
	s_and_b32 s9, s11, 0xffff
	s_mul_i32 s4, s20, s21
	s_mul_i32 s4, s4, s9
	v_mov_b32_e32 v7, s13
	v_add_co_u32_e32 v6, vcc, s12, v4
	v_addc_co_u32_e32 v7, vcc, v7, v5, vcc
	v_mov_b32_e32 v8, s4
	global_store_dword v[6:7], v8, off
	v_mad_u32_u24 v6, v2, s20, v1
	v_mad_u64_u32 v[6:7], s[4:5], v6, s21, v[0:1]
	v_mov_b32_e32 v8, s15
	v_add_co_u32_e32 v7, vcc, s14, v4
	v_addc_co_u32_e32 v8, vcc, v8, v5, vcc
	v_cmp_lt_i32_e32 vcc, 0, v0
	global_store_dword v[7:8], v6, off
	s_and_saveexec_b64 s[4:5], vcc
	s_xor_b64 s[4:5], exec, s[4:5]
	s_cbranch_execz .LBB0_4
; %bb.1:
	v_cmp_eq_u32_e32 vcc, 1, v0
	s_and_saveexec_b64 s[10:11], vcc
; %bb.2:
	v_mov_b32_e32 v6, 20
	v_mov_b32_e32 v7, 0
	ds_write_b32 v7, v6 offset:4
; %bb.3:
	s_or_b64 exec, exec, s[10:11]
.LBB0_4:
	s_andn2_saveexec_b64 s[4:5], s[4:5]
; %bb.5:
	v_mov_b32_e32 v6, 10
	v_mov_b32_e32 v7, 0
	ds_write_b32 v7, v6
; %bb.6:
	s_or_b64 exec, exec, s[4:5]
	v_mov_b32_e32 v6, 0
	s_waitcnt vmcnt(0) lgkmcnt(0)
	s_barrier
	ds_read_b64 v[6:7], v6
	v_mov_b32_e32 v8, s17
	v_add_co_u32_e32 v4, vcc, s16, v4
	v_addc_co_u32_e32 v5, vcc, v8, v5, vcc
	s_waitcnt lgkmcnt(0)
	v_mul_lo_u32 v9, v6, v7
	v_mad_i64_i32 v[6:7], s[4:5], v3, 12, 0
	v_mov_b32_e32 v3, s19
	global_store_dword v[4:5], v9, off
	v_add_co_u32_e32 v8, vcc, s18, v6
	v_addc_co_u32_e32 v9, vcc, v3, v7, vcc
	v_mov_b32_e32 v3, s6
	v_mov_b32_e32 v4, s7
	;; [unrolled: 1-line block ×3, first 2 shown]
	global_store_dwordx3 v[8:9], v[3:5], off
	s_nop 0
	v_mov_b32_e32 v4, s1
	v_add_co_u32_e32 v3, vcc, s0, v6
	v_addc_co_u32_e32 v4, vcc, v4, v7, vcc
	global_store_dwordx3 v[3:4], v[0:2], off
	v_add_co_u32_e32 v3, vcc, s2, v6
	v_mov_b32_e32 v0, s3
	v_addc_co_u32_e32 v4, vcc, v0, v7, vcc
	v_mov_b32_e32 v0, s21
	v_mov_b32_e32 v1, s20
	v_mov_b32_e32 v2, s9
	global_store_dwordx3 v[3:4], v[0:2], off
	s_endpgm
	.section	.rodata,"a",@progbits
	.p2align	6, 0x0
	.amdhsa_kernel _ZL27kernel_cg_thread_block_typePiS_S_P4dim3S1_S1_
		.amdhsa_group_segment_fixed_size 8
		.amdhsa_private_segment_fixed_size 0
		.amdhsa_kernarg_size 304
		.amdhsa_user_sgpr_count 6
		.amdhsa_user_sgpr_private_segment_buffer 1
		.amdhsa_user_sgpr_dispatch_ptr 0
		.amdhsa_user_sgpr_queue_ptr 0
		.amdhsa_user_sgpr_kernarg_segment_ptr 1
		.amdhsa_user_sgpr_dispatch_id 0
		.amdhsa_user_sgpr_flat_scratch_init 0
		.amdhsa_user_sgpr_private_segment_size 0
		.amdhsa_uses_dynamic_stack 0
		.amdhsa_system_sgpr_private_segment_wavefront_offset 0
		.amdhsa_system_sgpr_workgroup_id_x 1
		.amdhsa_system_sgpr_workgroup_id_y 1
		.amdhsa_system_sgpr_workgroup_id_z 1
		.amdhsa_system_sgpr_workgroup_info 0
		.amdhsa_system_vgpr_workitem_id 2
		.amdhsa_next_free_vgpr 10
		.amdhsa_next_free_sgpr 22
		.amdhsa_reserve_vcc 1
		.amdhsa_reserve_flat_scratch 0
		.amdhsa_float_round_mode_32 0
		.amdhsa_float_round_mode_16_64 0
		.amdhsa_float_denorm_mode_32 3
		.amdhsa_float_denorm_mode_16_64 3
		.amdhsa_dx10_clamp 1
		.amdhsa_ieee_mode 1
		.amdhsa_fp16_overflow 0
		.amdhsa_exception_fp_ieee_invalid_op 0
		.amdhsa_exception_fp_denorm_src 0
		.amdhsa_exception_fp_ieee_div_zero 0
		.amdhsa_exception_fp_ieee_overflow 0
		.amdhsa_exception_fp_ieee_underflow 0
		.amdhsa_exception_fp_ieee_inexact 0
		.amdhsa_exception_int_div_zero 0
	.end_amdhsa_kernel
	.section	.text._ZL27kernel_cg_thread_block_typePiS_S_P4dim3S1_S1_,"axG",@progbits,_ZL27kernel_cg_thread_block_typePiS_S_P4dim3S1_S1_,comdat
.Lfunc_end0:
	.size	_ZL27kernel_cg_thread_block_typePiS_S_P4dim3S1_S1_, .Lfunc_end0-_ZL27kernel_cg_thread_block_typePiS_S_P4dim3S1_S1_
                                        ; -- End function
	.set _ZL27kernel_cg_thread_block_typePiS_S_P4dim3S1_S1_.num_vgpr, 10
	.set _ZL27kernel_cg_thread_block_typePiS_S_P4dim3S1_S1_.num_agpr, 0
	.set _ZL27kernel_cg_thread_block_typePiS_S_P4dim3S1_S1_.numbered_sgpr, 22
	.set _ZL27kernel_cg_thread_block_typePiS_S_P4dim3S1_S1_.num_named_barrier, 0
	.set _ZL27kernel_cg_thread_block_typePiS_S_P4dim3S1_S1_.private_seg_size, 0
	.set _ZL27kernel_cg_thread_block_typePiS_S_P4dim3S1_S1_.uses_vcc, 1
	.set _ZL27kernel_cg_thread_block_typePiS_S_P4dim3S1_S1_.uses_flat_scratch, 0
	.set _ZL27kernel_cg_thread_block_typePiS_S_P4dim3S1_S1_.has_dyn_sized_stack, 0
	.set _ZL27kernel_cg_thread_block_typePiS_S_P4dim3S1_S1_.has_recursion, 0
	.set _ZL27kernel_cg_thread_block_typePiS_S_P4dim3S1_S1_.has_indirect_call, 0
	.section	.AMDGPU.csdata,"",@progbits
; Kernel info:
; codeLenInByte = 356
; TotalNumSgprs: 26
; NumVgprs: 10
; ScratchSize: 0
; MemoryBound: 0
; FloatMode: 240
; IeeeMode: 1
; LDSByteSize: 8 bytes/workgroup (compile time only)
; SGPRBlocks: 3
; VGPRBlocks: 2
; NumSGPRsForWavesPerEU: 26
; NumVGPRsForWavesPerEU: 10
; Occupancy: 10
; WaveLimiterHint : 0
; COMPUTE_PGM_RSRC2:SCRATCH_EN: 0
; COMPUTE_PGM_RSRC2:USER_SGPR: 6
; COMPUTE_PGM_RSRC2:TRAP_HANDLER: 0
; COMPUTE_PGM_RSRC2:TGID_X_EN: 1
; COMPUTE_PGM_RSRC2:TGID_Y_EN: 1
; COMPUTE_PGM_RSRC2:TGID_Z_EN: 1
; COMPUTE_PGM_RSRC2:TIDIG_COMP_CNT: 2
	.section	.text._ZL41kernel_cg_thread_block_type_via_base_typePiS_S_,"axG",@progbits,_ZL41kernel_cg_thread_block_type_via_base_typePiS_S_,comdat
	.globl	_ZL41kernel_cg_thread_block_type_via_base_typePiS_S_ ; -- Begin function _ZL41kernel_cg_thread_block_type_via_base_typePiS_S_
	.p2align	8
	.type	_ZL41kernel_cg_thread_block_type_via_base_typePiS_S_,@function
_ZL41kernel_cg_thread_block_type_via_base_typePiS_S_: ; @_ZL41kernel_cg_thread_block_type_via_base_typePiS_S_
; %bb.0:
	s_load_dwordx2 s[2:3], s[4:5], 0x24
	s_load_dwordx4 s[8:11], s[4:5], 0x0
	s_load_dwordx2 s[0:1], s[4:5], 0x10
	s_waitcnt lgkmcnt(0)
	s_lshr_b32 s4, s2, 16
	s_and_b32 s2, s2, 0xffff
	s_mul_i32 s6, s6, s2
	v_add_u32_e32 v3, s6, v0
	v_ashrrev_i32_e32 v4, 31, v3
	v_lshlrev_b64 v[3:4], 2, v[3:4]
	s_and_b32 s3, s3, 0xffff
	s_mul_i32 s5, s4, s2
	s_mul_i32 s3, s5, s3
	v_mov_b32_e32 v6, s9
	v_add_co_u32_e32 v5, vcc, s8, v3
	v_mad_u32_u24 v1, v2, s4, v1
	v_addc_co_u32_e32 v6, vcc, v6, v4, vcc
	v_mov_b32_e32 v7, s3
	v_mad_u64_u32 v[1:2], s[2:3], v1, s2, v[0:1]
	global_store_dword v[5:6], v7, off
	v_mov_b32_e32 v2, s11
	v_add_co_u32_e32 v5, vcc, s10, v3
	v_addc_co_u32_e32 v6, vcc, v2, v4, vcc
	v_cmp_lt_i32_e32 vcc, 0, v0
	global_store_dword v[5:6], v1, off
	s_and_saveexec_b64 s[2:3], vcc
	s_xor_b64 s[2:3], exec, s[2:3]
	s_cbranch_execz .LBB1_4
; %bb.1:
	v_cmp_eq_u32_e32 vcc, 1, v0
	s_and_saveexec_b64 s[4:5], vcc
; %bb.2:
	v_mov_b32_e32 v0, 20
	v_mov_b32_e32 v1, 0
	ds_write_b32 v1, v0 offset:4
; %bb.3:
	s_or_b64 exec, exec, s[4:5]
.LBB1_4:
	s_andn2_saveexec_b64 s[2:3], s[2:3]
; %bb.5:
	v_mov_b32_e32 v0, 10
	v_mov_b32_e32 v1, 0
	ds_write_b32 v1, v0
; %bb.6:
	s_or_b64 exec, exec, s[2:3]
	v_mov_b32_e32 v0, 0
	s_waitcnt vmcnt(0) lgkmcnt(0)
	s_barrier
	ds_read_b64 v[0:1], v0
	v_mov_b32_e32 v2, s1
	s_waitcnt lgkmcnt(0)
	v_mul_lo_u32 v5, v0, v1
	v_add_co_u32_e32 v0, vcc, s0, v3
	v_addc_co_u32_e32 v1, vcc, v2, v4, vcc
	global_store_dword v[0:1], v5, off
	s_endpgm
	.section	.rodata,"a",@progbits
	.p2align	6, 0x0
	.amdhsa_kernel _ZL41kernel_cg_thread_block_type_via_base_typePiS_S_
		.amdhsa_group_segment_fixed_size 8
		.amdhsa_private_segment_fixed_size 0
		.amdhsa_kernarg_size 280
		.amdhsa_user_sgpr_count 6
		.amdhsa_user_sgpr_private_segment_buffer 1
		.amdhsa_user_sgpr_dispatch_ptr 0
		.amdhsa_user_sgpr_queue_ptr 0
		.amdhsa_user_sgpr_kernarg_segment_ptr 1
		.amdhsa_user_sgpr_dispatch_id 0
		.amdhsa_user_sgpr_flat_scratch_init 0
		.amdhsa_user_sgpr_private_segment_size 0
		.amdhsa_uses_dynamic_stack 0
		.amdhsa_system_sgpr_private_segment_wavefront_offset 0
		.amdhsa_system_sgpr_workgroup_id_x 1
		.amdhsa_system_sgpr_workgroup_id_y 0
		.amdhsa_system_sgpr_workgroup_id_z 0
		.amdhsa_system_sgpr_workgroup_info 0
		.amdhsa_system_vgpr_workitem_id 2
		.amdhsa_next_free_vgpr 8
		.amdhsa_next_free_sgpr 12
		.amdhsa_reserve_vcc 1
		.amdhsa_reserve_flat_scratch 0
		.amdhsa_float_round_mode_32 0
		.amdhsa_float_round_mode_16_64 0
		.amdhsa_float_denorm_mode_32 3
		.amdhsa_float_denorm_mode_16_64 3
		.amdhsa_dx10_clamp 1
		.amdhsa_ieee_mode 1
		.amdhsa_fp16_overflow 0
		.amdhsa_exception_fp_ieee_invalid_op 0
		.amdhsa_exception_fp_denorm_src 0
		.amdhsa_exception_fp_ieee_div_zero 0
		.amdhsa_exception_fp_ieee_overflow 0
		.amdhsa_exception_fp_ieee_underflow 0
		.amdhsa_exception_fp_ieee_inexact 0
		.amdhsa_exception_int_div_zero 0
	.end_amdhsa_kernel
	.section	.text._ZL41kernel_cg_thread_block_type_via_base_typePiS_S_,"axG",@progbits,_ZL41kernel_cg_thread_block_type_via_base_typePiS_S_,comdat
.Lfunc_end1:
	.size	_ZL41kernel_cg_thread_block_type_via_base_typePiS_S_, .Lfunc_end1-_ZL41kernel_cg_thread_block_type_via_base_typePiS_S_
                                        ; -- End function
	.set _ZL41kernel_cg_thread_block_type_via_base_typePiS_S_.num_vgpr, 8
	.set _ZL41kernel_cg_thread_block_type_via_base_typePiS_S_.num_agpr, 0
	.set _ZL41kernel_cg_thread_block_type_via_base_typePiS_S_.numbered_sgpr, 12
	.set _ZL41kernel_cg_thread_block_type_via_base_typePiS_S_.num_named_barrier, 0
	.set _ZL41kernel_cg_thread_block_type_via_base_typePiS_S_.private_seg_size, 0
	.set _ZL41kernel_cg_thread_block_type_via_base_typePiS_S_.uses_vcc, 1
	.set _ZL41kernel_cg_thread_block_type_via_base_typePiS_S_.uses_flat_scratch, 0
	.set _ZL41kernel_cg_thread_block_type_via_base_typePiS_S_.has_dyn_sized_stack, 0
	.set _ZL41kernel_cg_thread_block_type_via_base_typePiS_S_.has_recursion, 0
	.set _ZL41kernel_cg_thread_block_type_via_base_typePiS_S_.has_indirect_call, 0
	.section	.AMDGPU.csdata,"",@progbits
; Kernel info:
; codeLenInByte = 260
; TotalNumSgprs: 16
; NumVgprs: 8
; ScratchSize: 0
; MemoryBound: 0
; FloatMode: 240
; IeeeMode: 1
; LDSByteSize: 8 bytes/workgroup (compile time only)
; SGPRBlocks: 1
; VGPRBlocks: 1
; NumSGPRsForWavesPerEU: 16
; NumVGPRsForWavesPerEU: 8
; Occupancy: 10
; WaveLimiterHint : 0
; COMPUTE_PGM_RSRC2:SCRATCH_EN: 0
; COMPUTE_PGM_RSRC2:USER_SGPR: 6
; COMPUTE_PGM_RSRC2:TRAP_HANDLER: 0
; COMPUTE_PGM_RSRC2:TGID_X_EN: 1
; COMPUTE_PGM_RSRC2:TGID_Y_EN: 0
; COMPUTE_PGM_RSRC2:TGID_Z_EN: 0
; COMPUTE_PGM_RSRC2:TIDIG_COMP_CNT: 2
	.section	.text._ZL42kernel_cg_thread_block_type_via_public_apiPiS_S_,"axG",@progbits,_ZL42kernel_cg_thread_block_type_via_public_apiPiS_S_,comdat
	.globl	_ZL42kernel_cg_thread_block_type_via_public_apiPiS_S_ ; -- Begin function _ZL42kernel_cg_thread_block_type_via_public_apiPiS_S_
	.p2align	8
	.type	_ZL42kernel_cg_thread_block_type_via_public_apiPiS_S_,@function
_ZL42kernel_cg_thread_block_type_via_public_apiPiS_S_: ; @_ZL42kernel_cg_thread_block_type_via_public_apiPiS_S_
; %bb.0:
	s_load_dwordx2 s[2:3], s[4:5], 0x24
	s_load_dwordx4 s[8:11], s[4:5], 0x0
	s_load_dwordx2 s[0:1], s[4:5], 0x10
	s_waitcnt lgkmcnt(0)
	s_lshr_b32 s4, s2, 16
	s_and_b32 s2, s2, 0xffff
	s_mul_i32 s6, s6, s2
	v_add_u32_e32 v3, s6, v0
	v_ashrrev_i32_e32 v4, 31, v3
	v_lshlrev_b64 v[3:4], 2, v[3:4]
	s_and_b32 s3, s3, 0xffff
	s_mul_i32 s5, s4, s2
	s_mul_i32 s3, s5, s3
	v_mov_b32_e32 v6, s9
	v_add_co_u32_e32 v5, vcc, s8, v3
	v_mad_u32_u24 v1, v2, s4, v1
	v_addc_co_u32_e32 v6, vcc, v6, v4, vcc
	v_mov_b32_e32 v7, s3
	v_mad_u64_u32 v[1:2], s[2:3], v1, s2, v[0:1]
	global_store_dword v[5:6], v7, off
	v_mov_b32_e32 v2, s11
	v_add_co_u32_e32 v5, vcc, s10, v3
	v_addc_co_u32_e32 v6, vcc, v2, v4, vcc
	v_cmp_lt_i32_e32 vcc, 0, v0
	global_store_dword v[5:6], v1, off
	s_and_saveexec_b64 s[2:3], vcc
	s_xor_b64 s[2:3], exec, s[2:3]
	s_cbranch_execz .LBB2_4
; %bb.1:
	v_cmp_eq_u32_e32 vcc, 1, v0
	s_and_saveexec_b64 s[4:5], vcc
; %bb.2:
	v_mov_b32_e32 v0, 20
	v_mov_b32_e32 v1, 0
	ds_write_b32 v1, v0 offset:4
; %bb.3:
	s_or_b64 exec, exec, s[4:5]
.LBB2_4:
	s_andn2_saveexec_b64 s[2:3], s[2:3]
; %bb.5:
	v_mov_b32_e32 v0, 10
	v_mov_b32_e32 v1, 0
	ds_write_b32 v1, v0
; %bb.6:
	s_or_b64 exec, exec, s[2:3]
	v_mov_b32_e32 v0, 0
	s_waitcnt vmcnt(0) lgkmcnt(0)
	s_barrier
	ds_read_b64 v[0:1], v0
	v_mov_b32_e32 v2, s1
	s_waitcnt lgkmcnt(0)
	v_mul_lo_u32 v5, v0, v1
	v_add_co_u32_e32 v0, vcc, s0, v3
	v_addc_co_u32_e32 v1, vcc, v2, v4, vcc
	global_store_dword v[0:1], v5, off
	s_endpgm
	.section	.rodata,"a",@progbits
	.p2align	6, 0x0
	.amdhsa_kernel _ZL42kernel_cg_thread_block_type_via_public_apiPiS_S_
		.amdhsa_group_segment_fixed_size 8
		.amdhsa_private_segment_fixed_size 0
		.amdhsa_kernarg_size 280
		.amdhsa_user_sgpr_count 6
		.amdhsa_user_sgpr_private_segment_buffer 1
		.amdhsa_user_sgpr_dispatch_ptr 0
		.amdhsa_user_sgpr_queue_ptr 0
		.amdhsa_user_sgpr_kernarg_segment_ptr 1
		.amdhsa_user_sgpr_dispatch_id 0
		.amdhsa_user_sgpr_flat_scratch_init 0
		.amdhsa_user_sgpr_private_segment_size 0
		.amdhsa_uses_dynamic_stack 0
		.amdhsa_system_sgpr_private_segment_wavefront_offset 0
		.amdhsa_system_sgpr_workgroup_id_x 1
		.amdhsa_system_sgpr_workgroup_id_y 0
		.amdhsa_system_sgpr_workgroup_id_z 0
		.amdhsa_system_sgpr_workgroup_info 0
		.amdhsa_system_vgpr_workitem_id 2
		.amdhsa_next_free_vgpr 8
		.amdhsa_next_free_sgpr 12
		.amdhsa_reserve_vcc 1
		.amdhsa_reserve_flat_scratch 0
		.amdhsa_float_round_mode_32 0
		.amdhsa_float_round_mode_16_64 0
		.amdhsa_float_denorm_mode_32 3
		.amdhsa_float_denorm_mode_16_64 3
		.amdhsa_dx10_clamp 1
		.amdhsa_ieee_mode 1
		.amdhsa_fp16_overflow 0
		.amdhsa_exception_fp_ieee_invalid_op 0
		.amdhsa_exception_fp_denorm_src 0
		.amdhsa_exception_fp_ieee_div_zero 0
		.amdhsa_exception_fp_ieee_overflow 0
		.amdhsa_exception_fp_ieee_underflow 0
		.amdhsa_exception_fp_ieee_inexact 0
		.amdhsa_exception_int_div_zero 0
	.end_amdhsa_kernel
	.section	.text._ZL42kernel_cg_thread_block_type_via_public_apiPiS_S_,"axG",@progbits,_ZL42kernel_cg_thread_block_type_via_public_apiPiS_S_,comdat
.Lfunc_end2:
	.size	_ZL42kernel_cg_thread_block_type_via_public_apiPiS_S_, .Lfunc_end2-_ZL42kernel_cg_thread_block_type_via_public_apiPiS_S_
                                        ; -- End function
	.set _ZL42kernel_cg_thread_block_type_via_public_apiPiS_S_.num_vgpr, 8
	.set _ZL42kernel_cg_thread_block_type_via_public_apiPiS_S_.num_agpr, 0
	.set _ZL42kernel_cg_thread_block_type_via_public_apiPiS_S_.numbered_sgpr, 12
	.set _ZL42kernel_cg_thread_block_type_via_public_apiPiS_S_.num_named_barrier, 0
	.set _ZL42kernel_cg_thread_block_type_via_public_apiPiS_S_.private_seg_size, 0
	.set _ZL42kernel_cg_thread_block_type_via_public_apiPiS_S_.uses_vcc, 1
	.set _ZL42kernel_cg_thread_block_type_via_public_apiPiS_S_.uses_flat_scratch, 0
	.set _ZL42kernel_cg_thread_block_type_via_public_apiPiS_S_.has_dyn_sized_stack, 0
	.set _ZL42kernel_cg_thread_block_type_via_public_apiPiS_S_.has_recursion, 0
	.set _ZL42kernel_cg_thread_block_type_via_public_apiPiS_S_.has_indirect_call, 0
	.section	.AMDGPU.csdata,"",@progbits
; Kernel info:
; codeLenInByte = 260
; TotalNumSgprs: 16
; NumVgprs: 8
; ScratchSize: 0
; MemoryBound: 0
; FloatMode: 240
; IeeeMode: 1
; LDSByteSize: 8 bytes/workgroup (compile time only)
; SGPRBlocks: 1
; VGPRBlocks: 1
; NumSGPRsForWavesPerEU: 16
; NumVGPRsForWavesPerEU: 8
; Occupancy: 10
; WaveLimiterHint : 0
; COMPUTE_PGM_RSRC2:SCRATCH_EN: 0
; COMPUTE_PGM_RSRC2:USER_SGPR: 6
; COMPUTE_PGM_RSRC2:TRAP_HANDLER: 0
; COMPUTE_PGM_RSRC2:TGID_X_EN: 1
; COMPUTE_PGM_RSRC2:TGID_Y_EN: 0
; COMPUTE_PGM_RSRC2:TGID_Z_EN: 0
; COMPUTE_PGM_RSRC2:TIDIG_COMP_CNT: 2
	.section	.AMDGPU.gpr_maximums,"",@progbits
	.set amdgpu.max_num_vgpr, 0
	.set amdgpu.max_num_agpr, 0
	.set amdgpu.max_num_sgpr, 0
	.section	.AMDGPU.csdata,"",@progbits
	.type	__hip_cuid_9f93333dcd6de3e9,@object ; @__hip_cuid_9f93333dcd6de3e9
	.section	.bss,"aw",@nobits
	.globl	__hip_cuid_9f93333dcd6de3e9
__hip_cuid_9f93333dcd6de3e9:
	.byte	0                               ; 0x0
	.size	__hip_cuid_9f93333dcd6de3e9, 1

	.ident	"AMD clang version 22.0.0git (https://github.com/RadeonOpenCompute/llvm-project roc-7.2.4 26084 f58b06dce1f9c15707c5f808fd002e18c2accf7e)"
	.section	".note.GNU-stack","",@progbits
	.addrsig
	.addrsig_sym __hip_cuid_9f93333dcd6de3e9
	.amdgpu_metadata
---
amdhsa.kernels:
  - .args:
      - .address_space:  global
        .offset:         0
        .size:           8
        .value_kind:     global_buffer
      - .address_space:  global
        .offset:         8
        .size:           8
        .value_kind:     global_buffer
      - .address_space:  global
        .offset:         16
        .size:           8
        .value_kind:     global_buffer
      - .address_space:  global
        .offset:         24
        .size:           8
        .value_kind:     global_buffer
      - .address_space:  global
        .offset:         32
        .size:           8
        .value_kind:     global_buffer
      - .address_space:  global
        .offset:         40
        .size:           8
        .value_kind:     global_buffer
      - .offset:         48
        .size:           4
        .value_kind:     hidden_block_count_x
      - .offset:         52
        .size:           4
        .value_kind:     hidden_block_count_y
      - .offset:         56
        .size:           4
        .value_kind:     hidden_block_count_z
      - .offset:         60
        .size:           2
        .value_kind:     hidden_group_size_x
      - .offset:         62
        .size:           2
        .value_kind:     hidden_group_size_y
      - .offset:         64
        .size:           2
        .value_kind:     hidden_group_size_z
      - .offset:         66
        .size:           2
        .value_kind:     hidden_remainder_x
      - .offset:         68
        .size:           2
        .value_kind:     hidden_remainder_y
      - .offset:         70
        .size:           2
        .value_kind:     hidden_remainder_z
      - .offset:         88
        .size:           8
        .value_kind:     hidden_global_offset_x
      - .offset:         96
        .size:           8
        .value_kind:     hidden_global_offset_y
      - .offset:         104
        .size:           8
        .value_kind:     hidden_global_offset_z
      - .offset:         112
        .size:           2
        .value_kind:     hidden_grid_dims
    .group_segment_fixed_size: 8
    .kernarg_segment_align: 8
    .kernarg_segment_size: 304
    .language:       OpenCL C
    .language_version:
      - 2
      - 0
    .max_flat_workgroup_size: 1024
    .name:           _ZL27kernel_cg_thread_block_typePiS_S_P4dim3S1_S1_
    .private_segment_fixed_size: 0
    .sgpr_count:     26
    .sgpr_spill_count: 0
    .symbol:         _ZL27kernel_cg_thread_block_typePiS_S_P4dim3S1_S1_.kd
    .uniform_work_group_size: 1
    .uses_dynamic_stack: false
    .vgpr_count:     10
    .vgpr_spill_count: 0
    .wavefront_size: 64
  - .args:
      - .address_space:  global
        .offset:         0
        .size:           8
        .value_kind:     global_buffer
      - .address_space:  global
        .offset:         8
        .size:           8
        .value_kind:     global_buffer
      - .address_space:  global
        .offset:         16
        .size:           8
        .value_kind:     global_buffer
      - .offset:         24
        .size:           4
        .value_kind:     hidden_block_count_x
      - .offset:         28
        .size:           4
        .value_kind:     hidden_block_count_y
      - .offset:         32
        .size:           4
        .value_kind:     hidden_block_count_z
      - .offset:         36
        .size:           2
        .value_kind:     hidden_group_size_x
      - .offset:         38
        .size:           2
        .value_kind:     hidden_group_size_y
      - .offset:         40
        .size:           2
        .value_kind:     hidden_group_size_z
      - .offset:         42
        .size:           2
        .value_kind:     hidden_remainder_x
      - .offset:         44
        .size:           2
        .value_kind:     hidden_remainder_y
      - .offset:         46
        .size:           2
        .value_kind:     hidden_remainder_z
      - .offset:         64
        .size:           8
        .value_kind:     hidden_global_offset_x
      - .offset:         72
        .size:           8
        .value_kind:     hidden_global_offset_y
      - .offset:         80
        .size:           8
        .value_kind:     hidden_global_offset_z
      - .offset:         88
        .size:           2
        .value_kind:     hidden_grid_dims
    .group_segment_fixed_size: 8
    .kernarg_segment_align: 8
    .kernarg_segment_size: 280
    .language:       OpenCL C
    .language_version:
      - 2
      - 0
    .max_flat_workgroup_size: 1024
    .name:           _ZL41kernel_cg_thread_block_type_via_base_typePiS_S_
    .private_segment_fixed_size: 0
    .sgpr_count:     16
    .sgpr_spill_count: 0
    .symbol:         _ZL41kernel_cg_thread_block_type_via_base_typePiS_S_.kd
    .uniform_work_group_size: 1
    .uses_dynamic_stack: false
    .vgpr_count:     8
    .vgpr_spill_count: 0
    .wavefront_size: 64
  - .args:
      - .address_space:  global
        .offset:         0
        .size:           8
        .value_kind:     global_buffer
      - .address_space:  global
        .offset:         8
        .size:           8
        .value_kind:     global_buffer
      - .address_space:  global
        .offset:         16
        .size:           8
        .value_kind:     global_buffer
      - .offset:         24
        .size:           4
        .value_kind:     hidden_block_count_x
      - .offset:         28
        .size:           4
        .value_kind:     hidden_block_count_y
      - .offset:         32
        .size:           4
        .value_kind:     hidden_block_count_z
      - .offset:         36
        .size:           2
        .value_kind:     hidden_group_size_x
      - .offset:         38
        .size:           2
        .value_kind:     hidden_group_size_y
      - .offset:         40
        .size:           2
        .value_kind:     hidden_group_size_z
      - .offset:         42
        .size:           2
        .value_kind:     hidden_remainder_x
      - .offset:         44
        .size:           2
        .value_kind:     hidden_remainder_y
      - .offset:         46
        .size:           2
        .value_kind:     hidden_remainder_z
      - .offset:         64
        .size:           8
        .value_kind:     hidden_global_offset_x
      - .offset:         72
        .size:           8
        .value_kind:     hidden_global_offset_y
      - .offset:         80
        .size:           8
        .value_kind:     hidden_global_offset_z
      - .offset:         88
        .size:           2
        .value_kind:     hidden_grid_dims
    .group_segment_fixed_size: 8
    .kernarg_segment_align: 8
    .kernarg_segment_size: 280
    .language:       OpenCL C
    .language_version:
      - 2
      - 0
    .max_flat_workgroup_size: 1024
    .name:           _ZL42kernel_cg_thread_block_type_via_public_apiPiS_S_
    .private_segment_fixed_size: 0
    .sgpr_count:     16
    .sgpr_spill_count: 0
    .symbol:         _ZL42kernel_cg_thread_block_type_via_public_apiPiS_S_.kd
    .uniform_work_group_size: 1
    .uses_dynamic_stack: false
    .vgpr_count:     8
    .vgpr_spill_count: 0
    .wavefront_size: 64
amdhsa.target:   amdgcn-amd-amdhsa--gfx906
amdhsa.version:
  - 1
  - 2
...

	.end_amdgpu_metadata
